;; amdgpu-corpus repo=ROCm/rocFFT kind=compiled arch=gfx950 opt=O3
	.text
	.amdgcn_target "amdgcn-amd-amdhsa--gfx950"
	.amdhsa_code_object_version 6
	.protected	fft_rtc_fwd_len14_factors_7_2_wgs_126_tpt_7_halfLds_sp_ip_CI_sbrr_dirReg ; -- Begin function fft_rtc_fwd_len14_factors_7_2_wgs_126_tpt_7_halfLds_sp_ip_CI_sbrr_dirReg
	.globl	fft_rtc_fwd_len14_factors_7_2_wgs_126_tpt_7_halfLds_sp_ip_CI_sbrr_dirReg
	.p2align	8
	.type	fft_rtc_fwd_len14_factors_7_2_wgs_126_tpt_7_halfLds_sp_ip_CI_sbrr_dirReg,@function
fft_rtc_fwd_len14_factors_7_2_wgs_126_tpt_7_halfLds_sp_ip_CI_sbrr_dirReg: ; @fft_rtc_fwd_len14_factors_7_2_wgs_126_tpt_7_halfLds_sp_ip_CI_sbrr_dirReg
; %bb.0:
	s_load_dwordx2 s[12:13], s[0:1], 0x18
	s_load_dwordx4 s[4:7], s[0:1], 0x0
	s_load_dwordx2 s[10:11], s[0:1], 0x50
	v_mul_u32_u24_e32 v1, 0x2493, v0
	v_lshrrev_b32_e32 v2, 16, v1
	s_waitcnt lgkmcnt(0)
	s_load_dwordx2 s[8:9], s[12:13], 0x0
	v_mad_u64_u32 v[2:3], s[2:3], s2, 18, v[2:3]
	v_mov_b32_e32 v6, 0
	v_mov_b32_e32 v3, v6
	v_cmp_lt_u64_e64 s[2:3], s[6:7], 2
	s_and_b64 vcc, exec, s[2:3]
	v_mov_b64_e32 v[4:5], 0
	v_mov_b64_e32 v[10:11], v[2:3]
	s_cbranch_vccnz .LBB0_8
; %bb.1:
	s_load_dwordx2 s[2:3], s[0:1], 0x10
	s_add_u32 s14, s12, 8
	s_addc_u32 s15, s13, 0
	s_mov_b64 s[16:17], 1
	v_mov_b64_e32 v[4:5], 0
	s_waitcnt lgkmcnt(0)
	s_add_u32 s18, s2, 8
	s_addc_u32 s19, s3, 0
	v_mov_b64_e32 v[8:9], v[2:3]
.LBB0_2:                                ; =>This Inner Loop Header: Depth=1
	s_load_dwordx2 s[20:21], s[18:19], 0x0
                                        ; implicit-def: $vgpr10_vgpr11
	s_waitcnt lgkmcnt(0)
	v_or_b32_e32 v7, s21, v9
	v_cmp_ne_u64_e32 vcc, 0, v[6:7]
	s_and_saveexec_b64 s[2:3], vcc
	s_xor_b64 s[22:23], exec, s[2:3]
	s_cbranch_execz .LBB0_4
; %bb.3:                                ;   in Loop: Header=BB0_2 Depth=1
	v_cvt_f32_u32_e32 v1, s20
	v_cvt_f32_u32_e32 v3, s21
	s_sub_u32 s2, 0, s20
	s_subb_u32 s3, 0, s21
	v_fmac_f32_e32 v1, 0x4f800000, v3
	v_rcp_f32_e32 v1, v1
	s_nop 0
	v_mul_f32_e32 v1, 0x5f7ffffc, v1
	v_mul_f32_e32 v3, 0x2f800000, v1
	v_trunc_f32_e32 v3, v3
	v_fmac_f32_e32 v1, 0xcf800000, v3
	v_cvt_u32_f32_e32 v3, v3
	v_cvt_u32_f32_e32 v1, v1
	v_mul_lo_u32 v7, s2, v3
	v_mul_hi_u32 v10, s2, v1
	v_mul_lo_u32 v11, s3, v1
	v_add_u32_e32 v7, v10, v7
	v_mul_lo_u32 v14, s2, v1
	v_add_u32_e32 v7, v7, v11
	v_mul_hi_u32 v10, v1, v14
	v_mul_hi_u32 v13, v1, v7
	v_mul_lo_u32 v12, v1, v7
	v_mov_b32_e32 v11, v6
	v_lshl_add_u64 v[10:11], v[10:11], 0, v[12:13]
	v_mul_hi_u32 v13, v3, v14
	v_mul_lo_u32 v14, v3, v14
	v_add_co_u32_e32 v10, vcc, v10, v14
	v_mul_hi_u32 v12, v3, v7
	s_nop 0
	v_addc_co_u32_e32 v10, vcc, v11, v13, vcc
	v_mov_b32_e32 v11, v6
	s_nop 0
	v_addc_co_u32_e32 v13, vcc, 0, v12, vcc
	v_mul_lo_u32 v12, v3, v7
	v_lshl_add_u64 v[10:11], v[10:11], 0, v[12:13]
	v_add_co_u32_e32 v1, vcc, v1, v10
	v_mul_hi_u32 v10, s2, v1
	s_nop 0
	v_addc_co_u32_e32 v3, vcc, v3, v11, vcc
	v_mul_lo_u32 v7, s2, v3
	v_add_u32_e32 v7, v10, v7
	v_mul_lo_u32 v10, s3, v1
	v_add_u32_e32 v7, v7, v10
	v_mul_lo_u32 v12, s2, v1
	v_mul_hi_u32 v15, v3, v12
	v_mul_lo_u32 v16, v3, v12
	v_mul_hi_u32 v11, v1, v7
	;; [unrolled: 2-line block ×3, first 2 shown]
	v_mov_b32_e32 v13, v6
	v_lshl_add_u64 v[10:11], v[12:13], 0, v[10:11]
	v_add_co_u32_e32 v10, vcc, v10, v16
	v_mul_hi_u32 v14, v3, v7
	s_nop 0
	v_addc_co_u32_e32 v10, vcc, v11, v15, vcc
	v_mul_lo_u32 v12, v3, v7
	s_nop 0
	v_addc_co_u32_e32 v13, vcc, 0, v14, vcc
	v_mov_b32_e32 v11, v6
	v_lshl_add_u64 v[10:11], v[10:11], 0, v[12:13]
	v_add_co_u32_e32 v1, vcc, v1, v10
	v_mul_hi_u32 v12, v8, v1
	s_nop 0
	v_addc_co_u32_e32 v3, vcc, v3, v11, vcc
	v_mad_u64_u32 v[10:11], s[2:3], v8, v3, 0
	v_mov_b32_e32 v13, v6
	v_lshl_add_u64 v[10:11], v[12:13], 0, v[10:11]
	v_mad_u64_u32 v[14:15], s[2:3], v9, v1, 0
	v_add_co_u32_e32 v1, vcc, v10, v14
	v_mad_u64_u32 v[12:13], s[2:3], v9, v3, 0
	s_nop 0
	v_addc_co_u32_e32 v10, vcc, v11, v15, vcc
	v_mov_b32_e32 v11, v6
	s_nop 0
	v_addc_co_u32_e32 v13, vcc, 0, v13, vcc
	v_lshl_add_u64 v[10:11], v[10:11], 0, v[12:13]
	v_mul_lo_u32 v1, s21, v10
	v_mul_lo_u32 v3, s20, v11
	v_mad_u64_u32 v[12:13], s[2:3], s20, v10, 0
	v_add3_u32 v1, v13, v3, v1
	v_sub_u32_e32 v3, v9, v1
	v_mov_b32_e32 v7, s21
	v_sub_co_u32_e32 v16, vcc, v8, v12
	v_lshl_add_u64 v[14:15], v[10:11], 0, 1
	s_nop 0
	v_subb_co_u32_e64 v3, s[2:3], v3, v7, vcc
	v_subrev_co_u32_e64 v7, s[2:3], s20, v16
	v_subb_co_u32_e32 v1, vcc, v9, v1, vcc
	s_nop 0
	v_subbrev_co_u32_e64 v3, s[2:3], 0, v3, s[2:3]
	v_cmp_le_u32_e64 s[2:3], s21, v3
	v_cmp_le_u32_e32 vcc, s21, v1
	s_nop 0
	v_cndmask_b32_e64 v12, 0, -1, s[2:3]
	v_cmp_le_u32_e64 s[2:3], s20, v7
	s_nop 1
	v_cndmask_b32_e64 v7, 0, -1, s[2:3]
	v_cmp_eq_u32_e64 s[2:3], s21, v3
	s_nop 1
	v_cndmask_b32_e64 v3, v12, v7, s[2:3]
	v_lshl_add_u64 v[12:13], v[10:11], 0, 2
	v_cmp_ne_u32_e64 s[2:3], 0, v3
	v_cndmask_b32_e64 v7, 0, -1, vcc
	v_cmp_le_u32_e32 vcc, s20, v16
	v_cndmask_b32_e64 v3, v15, v13, s[2:3]
	s_nop 0
	v_cndmask_b32_e64 v13, 0, -1, vcc
	v_cmp_eq_u32_e32 vcc, s21, v1
	s_nop 1
	v_cndmask_b32_e32 v1, v7, v13, vcc
	v_cmp_ne_u32_e32 vcc, 0, v1
	v_cndmask_b32_e64 v1, v14, v12, s[2:3]
	s_nop 0
	v_cndmask_b32_e32 v11, v11, v3, vcc
	v_cndmask_b32_e32 v10, v10, v1, vcc
.LBB0_4:                                ;   in Loop: Header=BB0_2 Depth=1
	s_andn2_saveexec_b64 s[2:3], s[22:23]
	s_cbranch_execz .LBB0_6
; %bb.5:                                ;   in Loop: Header=BB0_2 Depth=1
	v_cvt_f32_u32_e32 v1, s20
	s_sub_i32 s22, 0, s20
	v_mov_b32_e32 v11, v6
	v_rcp_iflag_f32_e32 v1, v1
	s_nop 0
	v_mul_f32_e32 v1, 0x4f7ffffe, v1
	v_cvt_u32_f32_e32 v1, v1
	v_mul_lo_u32 v3, s22, v1
	v_mul_hi_u32 v3, v1, v3
	v_add_u32_e32 v1, v1, v3
	v_mul_hi_u32 v1, v8, v1
	v_mul_lo_u32 v3, v1, s20
	v_sub_u32_e32 v3, v8, v3
	v_add_u32_e32 v7, 1, v1
	v_subrev_u32_e32 v10, s20, v3
	v_cmp_le_u32_e32 vcc, s20, v3
	s_nop 1
	v_cndmask_b32_e32 v3, v3, v10, vcc
	v_cndmask_b32_e32 v1, v1, v7, vcc
	v_add_u32_e32 v7, 1, v1
	v_cmp_le_u32_e32 vcc, s20, v3
	s_nop 1
	v_cndmask_b32_e32 v10, v1, v7, vcc
.LBB0_6:                                ;   in Loop: Header=BB0_2 Depth=1
	s_or_b64 exec, exec, s[2:3]
	v_mad_u64_u32 v[12:13], s[2:3], v10, s20, 0
	s_load_dwordx2 s[2:3], s[14:15], 0x0
	s_add_u32 s16, s16, 1
	v_mul_lo_u32 v1, v11, s20
	v_mul_lo_u32 v3, v10, s21
	s_addc_u32 s17, s17, 0
	v_add3_u32 v1, v13, v3, v1
	v_sub_co_u32_e32 v3, vcc, v8, v12
	s_add_u32 s14, s14, 8
	s_nop 0
	v_subb_co_u32_e32 v1, vcc, v9, v1, vcc
	s_addc_u32 s15, s15, 0
	v_mov_b64_e32 v[8:9], s[6:7]
	s_waitcnt lgkmcnt(0)
	v_mul_lo_u32 v1, s2, v1
	v_mul_lo_u32 v7, s3, v3
	v_mad_u64_u32 v[4:5], s[2:3], s2, v3, v[4:5]
	s_add_u32 s18, s18, 8
	v_cmp_ge_u64_e32 vcc, s[16:17], v[8:9]
	v_add3_u32 v5, v7, v5, v1
	s_addc_u32 s19, s19, 0
	s_cbranch_vccnz .LBB0_8
; %bb.7:                                ;   in Loop: Header=BB0_2 Depth=1
	v_mov_b64_e32 v[8:9], v[10:11]
	s_branch .LBB0_2
.LBB0_8:
	s_lshl_b64 s[2:3], s[6:7], 3
	s_add_u32 s2, s12, s2
	s_addc_u32 s3, s13, s3
	s_load_dwordx2 s[6:7], s[2:3], 0x0
	s_load_dwordx2 s[12:13], s[0:1], 0x20
	v_mov_b32_e32 v22, 0
                                        ; implicit-def: $vgpr8
                                        ; implicit-def: $vgpr12
                                        ; implicit-def: $vgpr18
	s_waitcnt lgkmcnt(0)
	v_mad_u64_u32 v[4:5], s[0:1], s6, v10, v[4:5]
	v_mul_lo_u32 v1, s6, v11
	v_mul_lo_u32 v3, s7, v10
	s_mov_b32 s0, 0x24924925
	v_add3_u32 v5, v3, v5, v1
	v_mul_hi_u32 v1, v0, s0
	v_cmp_gt_u64_e32 vcc, s[12:13], v[10:11]
	v_mul_u32_u24_e32 v1, 7, v1
	v_mov_b32_e32 v10, 0
	v_sub_u32_e32 v0, v0, v1
	v_mov_b32_e32 v11, v10
	v_mov_b32_e32 v14, v10
	;; [unrolled: 1-line block ×7, first 2 shown]
	s_and_saveexec_b64 s[2:3], vcc
	s_cbranch_execz .LBB0_12
; %bb.9:
	v_cmp_gt_u32_e64 s[0:1], 2, v0
	v_mov_b32_e32 v17, 0
	v_mov_b32_e32 v16, 0
	;; [unrolled: 1-line block ×8, first 2 shown]
                                        ; implicit-def: $vgpr19
                                        ; implicit-def: $vgpr13
                                        ; implicit-def: $vgpr9
	s_and_saveexec_b64 s[6:7], s[0:1]
	s_cbranch_execz .LBB0_11
; %bb.10:
	v_mad_u64_u32 v[6:7], s[0:1], s8, v0, 0
	v_mov_b32_e32 v8, v7
	v_mad_u64_u32 v[8:9], s[0:1], s9, v0, v[8:9]
	v_mov_b32_e32 v7, v8
	v_lshl_add_u64 v[12:13], v[4:5], 3, s[10:11]
	v_or_b32_e32 v1, 2, v0
	v_lshl_add_u64 v[14:15], v[6:7], 3, v[12:13]
	v_mad_u64_u32 v[6:7], s[0:1], s8, v1, 0
	v_mov_b32_e32 v8, v7
	v_mad_u64_u32 v[8:9], s[0:1], s9, v1, v[8:9]
	v_mov_b32_e32 v7, v8
	v_or_b32_e32 v1, 4, v0
	v_lshl_add_u64 v[18:19], v[6:7], 3, v[12:13]
	v_mad_u64_u32 v[6:7], s[0:1], s8, v1, 0
	v_mov_b32_e32 v8, v7
	v_mad_u64_u32 v[8:9], s[0:1], s9, v1, v[8:9]
	v_or_b32_e32 v1, 6, v0
	v_mov_b32_e32 v7, v8
	v_mad_u64_u32 v[22:23], s[0:1], s8, v1, 0
	v_lshl_add_u64 v[20:21], v[6:7], 3, v[12:13]
	v_mov_b32_e32 v6, v23
	v_mad_u64_u32 v[24:25], s[0:1], s9, v1, v[6:7]
	v_or_b32_e32 v1, 8, v0
	v_mad_u64_u32 v[6:7], s[0:1], s8, v1, 0
	v_mov_b32_e32 v8, v7
	v_mad_u64_u32 v[8:9], s[0:1], s9, v1, v[8:9]
	v_mov_b32_e32 v7, v8
	v_or_b32_e32 v1, 10, v0
	v_lshl_add_u64 v[26:27], v[6:7], 3, v[12:13]
	v_mad_u64_u32 v[6:7], s[0:1], s8, v1, 0
	v_mov_b32_e32 v8, v7
	v_mad_u64_u32 v[8:9], s[0:1], s9, v1, v[8:9]
	v_mov_b32_e32 v7, v8
	v_or_b32_e32 v1, 12, v0
	v_lshl_add_u64 v[28:29], v[6:7], 3, v[12:13]
	v_mad_u64_u32 v[6:7], s[0:1], s8, v1, 0
	v_mov_b32_e32 v8, v7
	v_mad_u64_u32 v[8:9], s[0:1], s9, v1, v[8:9]
	v_mov_b32_e32 v7, v8
	v_mov_b32_e32 v23, v24
	v_lshl_add_u64 v[30:31], v[6:7], 3, v[12:13]
	global_load_dwordx2 v[16:17], v[26:27], off
	global_load_dwordx2 v[8:9], v[28:29], off
	;; [unrolled: 1-line block ×6, first 2 shown]
	v_lshl_add_u64 v[12:13], v[22:23], 3, v[12:13]
	global_load_dwordx2 v[18:19], v[12:13], off
	s_waitcnt vmcnt(5)
	v_mov_b32_e32 v12, v8
	s_waitcnt vmcnt(4)
	v_mov_b32_e32 v13, v32
	v_mov_b32_e32 v8, v33
	s_waitcnt vmcnt(2)
	v_mov_b32_e32 v15, v34
	s_waitcnt vmcnt(1)
	v_mov_b32_e32 v14, v10
	v_mov_b32_e32 v10, v35
.LBB0_11:
	s_or_b64 exec, exec, s[6:7]
	v_mov_b32_e32 v22, v0
.LBB0_12:
	s_or_b64 exec, exec, s[2:3]
	s_mov_b32 s0, 0x38e38e39
	v_mul_hi_u32 v1, v2, s0
	v_lshrrev_b32_e32 v1, 2, v1
	v_mul_lo_u32 v1, v1, 18
	v_sub_u32_e32 v1, v2, v1
	v_mul_u32_u24_e32 v1, 14, v1
	s_waitcnt vmcnt(0)
	v_pk_add_f32 v[2:3], v[16:17], v[18:19]
	v_pk_add_f32 v[20:21], v[16:17], v[18:19] neg_lo:[0,1] neg_hi:[0,1]
	v_cmp_gt_u32_e64 s[0:1], 2, v0
	v_lshlrev_b32_e32 v1, 2, v1
	s_and_saveexec_b64 s[2:3], s[0:1]
	s_cbranch_execz .LBB0_14
; %bb.13:
	v_pk_add_f32 v[16:17], v[14:15], v[12:13]
	v_pk_add_f32 v[24:25], v[10:11], v[8:9] neg_lo:[0,1] neg_hi:[0,1]
	v_sub_f32_e32 v18, v17, v2
	v_mov_b32_e32 v26, v24
	v_mov_b32_e32 v27, v21
	;; [unrolled: 1-line block ×4, first 2 shown]
	s_mov_b32 s6, 0x3eae86e6
	v_mul_f32_e32 v18, 0x3f4a47b2, v18
	v_pk_add_f32 v[26:27], v[26:27], v[28:29] neg_lo:[0,1] neg_hi:[0,1]
	s_mov_b32 s7, 0xbf08b237
	v_pk_add_f32 v[32:33], v[24:25], v[20:21]
	v_mov_b32_e32 v19, v24
	v_pk_mul_f32 v[28:29], v[26:27], s[6:7]
	v_pk_add_f32 v[32:33], v[18:19], v[32:33]
	v_mov_b32_e32 v30, v29
	v_mov_b32_e32 v32, v25
	v_pk_fma_f32 v[26:27], v[26:27], s[6:7], v[30:31]
	v_pk_add_f32 v[24:25], v[32:33], v[24:25] neg_lo:[0,1] neg_hi:[0,1]
	s_mov_b32 s6, 0x3f5ff5aa
	v_mov_b32_e32 v25, v33
	s_mov_b32 s7, 0x3ee1c552
	v_pk_mul_f32 v[32:33], v[24:25], s[6:7]
	v_mul_u32_u24_e32 v19, 28, v0
	v_sub_f32_e64 v27, -v32, v28
	v_pk_fma_f32 v[24:25], v[24:25], s[6:7], v[30:31] neg_lo:[0,0,1] neg_hi:[0,0,1]
	v_mov_b32_e32 v28, v33
	v_add3_u32 v38, 0, v19, v1
	v_mov_b32_e32 v19, v16
	v_pk_add_f32 v[24:25], v[24:25], v[28:29]
	v_pk_add_f32 v[28:29], v[16:17], v[18:19]
	v_pk_add_f32 v[30:31], v[2:3], v[16:17] neg_lo:[0,1] neg_hi:[0,1]
	v_pk_add_f32 v[28:29], v[2:3], v[28:29] op_sel_hi:[0,1]
	v_mov_b32_e32 v28, v29
	v_mov_b32_e32 v31, v29
	v_pk_add_f32 v[28:29], v[6:7], v[28:29]
	s_mov_b32 s6, 0x3d64c772
	s_mov_b32 s7, 0x3f955555
	v_mov_b32_e32 v19, v28
	v_pk_mul_f32 v[34:35], v[30:31], s[6:7]
	v_pk_fma_f32 v[36:37], v[30:31], s[6:7], v[18:19]
	v_pk_fma_f32 v[30:31], v[30:31], s[6:7], v[18:19] neg_lo:[1,0,0] neg_hi:[1,0,0]
	v_sub_f32_e32 v23, v16, v17
	s_mov_b32 s6, 0xbf3bfb3b
	v_fma_f32 v17, v23, s6, -v18
	s_mov_b32 s6, 0x3f3bfb3b
	v_mov_b32_e32 v37, v31
	v_mov_b32_e32 v16, v31
	v_fma_f32 v23, v23, s6, -v34
	v_pk_add_f32 v[16:17], v[36:37], v[16:17]
	v_pk_add_f32 v[18:19], v[26:27], v[32:33] op_sel:[0,1]
	v_add_f32_e32 v26, v23, v31
	v_pk_add_f32 v[30:31], v[18:19], v[16:17]
	ds_write_b32 v38, v28
	ds_write2_b32 v38, v30, v31 offset0:1 offset1:2
	v_pk_add_f32 v[28:29], v[26:27], v[24:25] neg_lo:[0,1] neg_hi:[0,1]
	v_pk_add_f32 v[24:25], v[26:27], v[24:25]
	v_pk_add_f32 v[16:17], v[16:17], v[18:19] neg_lo:[0,1] neg_hi:[0,1]
	ds_write2_b32 v38, v28, v24 offset0:3 offset1:4
	ds_write2_b32 v38, v17, v16 offset0:5 offset1:6
.LBB0_14:
	s_or_b64 exec, exec, s[2:3]
	v_lshlrev_b32_e32 v16, 2, v0
	v_add3_u32 v17, 0, v1, v16
	v_add_u32_e32 v23, 0, v16
	s_waitcnt lgkmcnt(0)
	s_barrier
	v_add_u32_e32 v19, v23, v1
	ds_read_b32 v16, v17
	ds_read_b32 v18, v19 offset:28
	s_waitcnt lgkmcnt(0)
	s_barrier
	s_and_saveexec_b64 s[2:3], s[0:1]
	s_cbranch_execz .LBB0_16
; %bb.15:
	v_pk_add_f32 v[8:9], v[10:11], v[8:9]
	v_pk_add_f32 v[12:13], v[14:15], v[12:13] neg_lo:[0,1] neg_hi:[0,1]
	v_mov_b32_e32 v11, v8
	v_pk_add_f32 v[10:11], v[10:11], v[8:9]
	v_sub_f32_e32 v29, v9, v8
	v_sub_f32_e32 v8, v8, v3
	v_pk_add_f32 v[14:15], v[12:13], v[20:21]
	v_mov_b32_e32 v24, v9
	v_mul_f32_e32 v8, 0x3f4a47b2, v8
	v_mov_b32_e32 v9, v14
	v_pk_add_f32 v[14:15], v[12:13], v[12:13] op_sel:[0,1] op_sel_hi:[1,0] neg_lo:[0,1] neg_hi:[0,1]
	v_pk_add_f32 v[26:27], v[12:13], v[8:9]
	v_mov_b32_e32 v21, v12
	v_mov_b32_e32 v15, v27
	;; [unrolled: 1-line block ×4, first 2 shown]
	s_mov_b32 s0, 0x3eae86e6
	v_pk_add_f32 v[12:13], v[26:27], v[20:21] neg_lo:[0,1] neg_hi:[0,1]
	s_mov_b32 s1, 0xbf08b237
	v_pk_mul_f32 v[20:21], v[12:13], s[0:1]
	s_mov_b32 s6, 0x3f5ff5aa
	s_mov_b32 s7, 0x3ee1c552
	v_mov_b32_e32 v28, v21
	v_pk_mul_f32 v[26:27], v[14:15], s[6:7]
	s_mov_b32 s12, 0xbf3bfb3b
	v_pk_fma_f32 v[12:13], v[12:13], s[0:1], v[28:29]
	v_fma_f32 v25, v29, s12, -v8
	v_pk_fma_f32 v[14:15], v[14:15], s[6:7], v[28:29] neg_lo:[0,0,1] neg_hi:[0,0,1]
	v_sub_f32_e64 v13, -v26, v20
	v_mov_b32_e32 v20, v27
	v_pk_add_f32 v[14:15], v[14:15], v[20:21]
	v_pk_add_f32 v[20:21], v[2:3], v[24:25] op_sel:[1,0] neg_lo:[0,1] neg_hi:[0,1]
	v_pk_add_f32 v[2:3], v[2:3], v[10:11]
	s_mov_b32 s0, 0x3d64c772
	v_mov_b32_e32 v21, v3
	v_pk_add_f32 v[2:3], v[6:7], v[20:21]
	s_mov_b32 s1, 0x3f955555
	v_mov_b32_e32 v9, v3
	v_pk_mul_f32 v[6:7], v[20:21], s[0:1]
	v_pk_fma_f32 v[10:11], v[20:21], s[0:1], v[8:9]
	v_pk_fma_f32 v[8:9], v[20:21], s[0:1], v[8:9] neg_lo:[1,0,0] neg_hi:[1,0,0]
	s_mov_b32 s0, 0x3f3bfb3b
	v_fma_f32 v2, v29, s0, -v6
	v_mov_b32_e32 v11, v9
	v_add_f32_e32 v2, v2, v9
	v_mov_b32_e32 v24, v9
	v_pk_add_f32 v[6:7], v[10:11], v[24:25]
	v_pk_add_f32 v[8:9], v[12:13], v[26:27] op_sel:[0,1]
	v_pk_add_f32 v[12:13], v[2:3], v[14:15]
	v_pk_add_f32 v[14:15], v[2:3], v[14:15] neg_lo:[0,1] neg_hi:[0,1]
	v_mul_u32_u24_e32 v2, 24, v0
	v_pk_add_f32 v[10:11], v[6:7], v[8:9] neg_lo:[0,1] neg_hi:[0,1]
	v_pk_add_f32 v[6:7], v[6:7], v[8:9]
	v_add3_u32 v8, v23, v2, v1
	ds_write_b32 v8, v3
	ds_write2_b32 v8, v10, v11 offset0:1 offset1:2
	ds_write2_b32 v8, v12, v14 offset0:3 offset1:4
	v_mov_b32_e32 v1, v6
	ds_write2_b32 v8, v7, v6 offset0:5 offset1:6
.LBB0_16:
	s_or_b64 exec, exec, s[2:3]
	s_waitcnt lgkmcnt(0)
	s_barrier
	s_and_saveexec_b64 s[0:1], vcc
	s_cbranch_execz .LBB0_18
; %bb.17:
	v_mov_b32_e32 v1, 0
	v_lshl_add_u64 v[0:1], v[0:1], 3, s[4:5]
	global_load_dwordx2 v[0:1], v[0:1], off
	ds_read_b32 v17, v17
	ds_read_b32 v2, v19 offset:28
	v_mad_u64_u32 v[6:7], s[0:1], s8, v22, 0
	v_add_u32_e32 v3, 7, v22
	v_mov_b32_e32 v8, v7
	v_mad_u64_u32 v[10:11], s[0:1], s8, v3, 0
	v_mad_u64_u32 v[8:9], s[0:1], s9, v22, v[8:9]
	v_mov_b32_e32 v12, v11
	v_mov_b32_e32 v7, v8
	v_mad_u64_u32 v[8:9], s[0:1], s9, v3, v[12:13]
	v_mov_b32_e32 v11, v8
	v_lshl_add_u64 v[4:5], v[4:5], 3, s[10:11]
	v_lshl_add_u64 v[6:7], v[6:7], 3, v[4:5]
	;; [unrolled: 1-line block ×3, first 2 shown]
	s_waitcnt vmcnt(0) lgkmcnt(0)
	v_pk_mul_f32 v[2:3], v[2:3], v[0:1] op_sel:[0,1] op_sel_hi:[0,0]
	v_pk_fma_f32 v[8:9], v[18:19], v[0:1], v[2:3] neg_lo:[0,0,1] neg_hi:[0,0,1]
	v_pk_fma_f32 v[0:1], v[18:19], v[0:1], v[2:3] op_sel_hi:[0,1,1]
	v_mov_b32_e32 v9, v1
	v_pk_add_f32 v[0:1], v[16:17], v[8:9] neg_lo:[0,1] neg_hi:[0,1]
	s_nop 0
	v_pk_fma_f32 v[2:3], v[16:17], 2.0, v[0:1] op_sel_hi:[1,0,1] neg_lo:[0,0,1] neg_hi:[0,0,1]
	global_store_dwordx2 v[6:7], v[2:3], off
	global_store_dwordx2 v[4:5], v[0:1], off
.LBB0_18:
	s_endpgm
	.section	.rodata,"a",@progbits
	.p2align	6, 0x0
	.amdhsa_kernel fft_rtc_fwd_len14_factors_7_2_wgs_126_tpt_7_halfLds_sp_ip_CI_sbrr_dirReg
		.amdhsa_group_segment_fixed_size 0
		.amdhsa_private_segment_fixed_size 0
		.amdhsa_kernarg_size 88
		.amdhsa_user_sgpr_count 2
		.amdhsa_user_sgpr_dispatch_ptr 0
		.amdhsa_user_sgpr_queue_ptr 0
		.amdhsa_user_sgpr_kernarg_segment_ptr 1
		.amdhsa_user_sgpr_dispatch_id 0
		.amdhsa_user_sgpr_kernarg_preload_length 0
		.amdhsa_user_sgpr_kernarg_preload_offset 0
		.amdhsa_user_sgpr_private_segment_size 0
		.amdhsa_uses_dynamic_stack 0
		.amdhsa_enable_private_segment 0
		.amdhsa_system_sgpr_workgroup_id_x 1
		.amdhsa_system_sgpr_workgroup_id_y 0
		.amdhsa_system_sgpr_workgroup_id_z 0
		.amdhsa_system_sgpr_workgroup_info 0
		.amdhsa_system_vgpr_workitem_id 0
		.amdhsa_next_free_vgpr 39
		.amdhsa_next_free_sgpr 24
		.amdhsa_accum_offset 40
		.amdhsa_reserve_vcc 1
		.amdhsa_float_round_mode_32 0
		.amdhsa_float_round_mode_16_64 0
		.amdhsa_float_denorm_mode_32 3
		.amdhsa_float_denorm_mode_16_64 3
		.amdhsa_dx10_clamp 1
		.amdhsa_ieee_mode 1
		.amdhsa_fp16_overflow 0
		.amdhsa_tg_split 0
		.amdhsa_exception_fp_ieee_invalid_op 0
		.amdhsa_exception_fp_denorm_src 0
		.amdhsa_exception_fp_ieee_div_zero 0
		.amdhsa_exception_fp_ieee_overflow 0
		.amdhsa_exception_fp_ieee_underflow 0
		.amdhsa_exception_fp_ieee_inexact 0
		.amdhsa_exception_int_div_zero 0
	.end_amdhsa_kernel
	.text
.Lfunc_end0:
	.size	fft_rtc_fwd_len14_factors_7_2_wgs_126_tpt_7_halfLds_sp_ip_CI_sbrr_dirReg, .Lfunc_end0-fft_rtc_fwd_len14_factors_7_2_wgs_126_tpt_7_halfLds_sp_ip_CI_sbrr_dirReg
                                        ; -- End function
	.section	.AMDGPU.csdata,"",@progbits
; Kernel info:
; codeLenInByte = 2796
; NumSgprs: 30
; NumVgprs: 39
; NumAgprs: 0
; TotalNumVgprs: 39
; ScratchSize: 0
; MemoryBound: 0
; FloatMode: 240
; IeeeMode: 1
; LDSByteSize: 0 bytes/workgroup (compile time only)
; SGPRBlocks: 3
; VGPRBlocks: 4
; NumSGPRsForWavesPerEU: 30
; NumVGPRsForWavesPerEU: 39
; AccumOffset: 40
; Occupancy: 8
; WaveLimiterHint : 1
; COMPUTE_PGM_RSRC2:SCRATCH_EN: 0
; COMPUTE_PGM_RSRC2:USER_SGPR: 2
; COMPUTE_PGM_RSRC2:TRAP_HANDLER: 0
; COMPUTE_PGM_RSRC2:TGID_X_EN: 1
; COMPUTE_PGM_RSRC2:TGID_Y_EN: 0
; COMPUTE_PGM_RSRC2:TGID_Z_EN: 0
; COMPUTE_PGM_RSRC2:TIDIG_COMP_CNT: 0
; COMPUTE_PGM_RSRC3_GFX90A:ACCUM_OFFSET: 9
; COMPUTE_PGM_RSRC3_GFX90A:TG_SPLIT: 0
	.text
	.p2alignl 6, 3212836864
	.fill 256, 4, 3212836864
	.type	__hip_cuid_bbae796c7c072c32,@object ; @__hip_cuid_bbae796c7c072c32
	.section	.bss,"aw",@nobits
	.globl	__hip_cuid_bbae796c7c072c32
__hip_cuid_bbae796c7c072c32:
	.byte	0                               ; 0x0
	.size	__hip_cuid_bbae796c7c072c32, 1

	.ident	"AMD clang version 19.0.0git (https://github.com/RadeonOpenCompute/llvm-project roc-6.4.0 25133 c7fe45cf4b819c5991fe208aaa96edf142730f1d)"
	.section	".note.GNU-stack","",@progbits
	.addrsig
	.addrsig_sym __hip_cuid_bbae796c7c072c32
	.amdgpu_metadata
---
amdhsa.kernels:
  - .agpr_count:     0
    .args:
      - .actual_access:  read_only
        .address_space:  global
        .offset:         0
        .size:           8
        .value_kind:     global_buffer
      - .offset:         8
        .size:           8
        .value_kind:     by_value
      - .actual_access:  read_only
        .address_space:  global
        .offset:         16
        .size:           8
        .value_kind:     global_buffer
      - .actual_access:  read_only
        .address_space:  global
        .offset:         24
        .size:           8
        .value_kind:     global_buffer
      - .offset:         32
        .size:           8
        .value_kind:     by_value
      - .actual_access:  read_only
        .address_space:  global
        .offset:         40
        .size:           8
        .value_kind:     global_buffer
      - .actual_access:  read_only
        .address_space:  global
        .offset:         48
        .size:           8
        .value_kind:     global_buffer
      - .offset:         56
        .size:           4
        .value_kind:     by_value
      - .actual_access:  read_only
        .address_space:  global
        .offset:         64
        .size:           8
        .value_kind:     global_buffer
      - .actual_access:  read_only
        .address_space:  global
        .offset:         72
        .size:           8
        .value_kind:     global_buffer
      - .address_space:  global
        .offset:         80
        .size:           8
        .value_kind:     global_buffer
    .group_segment_fixed_size: 0
    .kernarg_segment_align: 8
    .kernarg_segment_size: 88
    .language:       OpenCL C
    .language_version:
      - 2
      - 0
    .max_flat_workgroup_size: 126
    .name:           fft_rtc_fwd_len14_factors_7_2_wgs_126_tpt_7_halfLds_sp_ip_CI_sbrr_dirReg
    .private_segment_fixed_size: 0
    .sgpr_count:     30
    .sgpr_spill_count: 0
    .symbol:         fft_rtc_fwd_len14_factors_7_2_wgs_126_tpt_7_halfLds_sp_ip_CI_sbrr_dirReg.kd
    .uniform_work_group_size: 1
    .uses_dynamic_stack: false
    .vgpr_count:     39
    .vgpr_spill_count: 0
    .wavefront_size: 64
amdhsa.target:   amdgcn-amd-amdhsa--gfx950
amdhsa.version:
  - 1
  - 2
...

	.end_amdgpu_metadata
